;; amdgpu-corpus repo=ROCm/rocFFT kind=compiled arch=gfx1201 opt=O3
	.text
	.amdgcn_target "amdgcn-amd-amdhsa--gfx1201"
	.amdhsa_code_object_version 6
	.protected	bluestein_single_back_len1323_dim1_dp_op_CI_CI ; -- Begin function bluestein_single_back_len1323_dim1_dp_op_CI_CI
	.globl	bluestein_single_back_len1323_dim1_dp_op_CI_CI
	.p2align	8
	.type	bluestein_single_back_len1323_dim1_dp_op_CI_CI,@function
bluestein_single_back_len1323_dim1_dp_op_CI_CI: ; @bluestein_single_back_len1323_dim1_dp_op_CI_CI
; %bb.0:
	s_load_b128 s[8:11], s[0:1], 0x28
	v_mul_u32_u24_e32 v1, 0x15b, v0
	s_mov_b32 s2, exec_lo
	v_mov_b32_e32 v157, 0
	s_delay_alu instid0(VALU_DEP_2) | instskip(NEXT) | instid1(VALU_DEP_1)
	v_lshrrev_b32_e32 v1, 16, v1
	v_add_nc_u32_e32 v156, ttmp9, v1
	s_wait_kmcnt 0x0
	s_delay_alu instid0(VALU_DEP_1)
	v_cmpx_gt_u64_e64 s[8:9], v[156:157]
	s_cbranch_execz .LBB0_31
; %bb.1:
	s_clause 0x1
	s_load_b128 s[4:7], s[0:1], 0x18
	s_load_b64 s[16:17], s[0:1], 0x0
	v_mul_lo_u16 v1, 0xbd, v1
	s_movk_i32 s2, 0xfd4b
	s_mov_b32 s3, -1
	s_delay_alu instid0(VALU_DEP_1) | instskip(NEXT) | instid1(VALU_DEP_1)
	v_sub_nc_u16 v74, v0, v1
	v_and_b32_e32 v160, 0xffff, v74
	s_wait_kmcnt 0x0
	s_load_b128 s[12:15], s[4:5], 0x0
	s_wait_kmcnt 0x0
	v_mad_co_u64_u32 v[4:5], null, s14, v156, 0
	v_mad_co_u64_u32 v[16:17], null, s12, v160, 0
	s_mul_u64 s[4:5], s[12:13], 0x1b9
	s_mul_u64 s[2:3], s[12:13], s[2:3]
	s_delay_alu instid0(SALU_CYCLE_1) | instskip(NEXT) | instid1(VALU_DEP_1)
	s_lshl_b64 s[2:3], s[2:3], 4
	v_dual_mov_b32 v1, v17 :: v_dual_mov_b32 v0, v5
	v_lshlrev_b32_e32 v159, 4, v160
	s_delay_alu instid0(VALU_DEP_2) | instskip(NEXT) | instid1(VALU_DEP_2)
	v_mad_co_u64_u32 v[2:3], null, s15, v156, v[0:1]
	v_add_co_u32 v157, s12, s16, v159
	s_wait_alu 0xf1ff
	v_add_co_ci_u32_e64 v158, null, s17, 0, s12
	s_delay_alu instid0(VALU_DEP_3)
	v_mad_co_u64_u32 v[6:7], null, s13, v160, v[1:2]
	v_mov_b32_e32 v5, v2
	global_load_b128 v[0:3], v159, s[16:17] offset:7056
	v_lshlrev_b64_e32 v[18:19], 4, v[4:5]
	v_mov_b32_e32 v17, v6
	s_clause 0x2
	global_load_b128 v[4:7], v159, s[16:17] offset:14112
	global_load_b128 v[8:11], v159, s[16:17]
	global_load_b128 v[12:15], v159, s[16:17] offset:3024
	v_lshlrev_b64_e32 v[16:17], 4, v[16:17]
	v_add_co_u32 v18, vcc_lo, s10, v18
	v_add_co_ci_u32_e32 v19, vcc_lo, s11, v19, vcc_lo
	s_lshl_b64 s[10:11], s[4:5], 4
	s_delay_alu instid0(VALU_DEP_2) | instskip(SKIP_1) | instid1(VALU_DEP_2)
	v_add_co_u32 v16, vcc_lo, v18, v16
	s_wait_alu 0xfffd
	v_add_co_ci_u32_e32 v17, vcc_lo, v19, v17, vcc_lo
	s_wait_alu 0xfffe
	s_delay_alu instid0(VALU_DEP_2) | instskip(SKIP_1) | instid1(VALU_DEP_2)
	v_add_co_u32 v18, vcc_lo, v16, s10
	s_wait_alu 0xfffd
	v_add_co_ci_u32_e32 v19, vcc_lo, s11, v17, vcc_lo
	s_clause 0x1
	global_load_b128 v[26:29], v[16:17], off
	global_load_b128 v[30:33], v[18:19], off
	v_add_co_u32 v20, vcc_lo, v18, s10
	s_wait_alu 0xfffd
	v_add_co_ci_u32_e32 v21, vcc_lo, s11, v19, vcc_lo
	s_delay_alu instid0(VALU_DEP_2) | instskip(SKIP_1) | instid1(VALU_DEP_2)
	v_add_co_u32 v22, vcc_lo, v20, s2
	s_wait_alu 0xfffd
	v_add_co_ci_u32_e32 v23, vcc_lo, s3, v21, vcc_lo
	s_clause 0x1
	global_load_b128 v[34:37], v[20:21], off
	global_load_b128 v[38:41], v[22:23], off
	v_add_co_u32 v42, vcc_lo, v22, s10
	s_wait_alu 0xfffd
	v_add_co_ci_u32_e32 v43, vcc_lo, s11, v23, vcc_lo
	s_delay_alu instid0(VALU_DEP_2) | instskip(SKIP_1) | instid1(VALU_DEP_2)
	v_add_co_u32 v24, vcc_lo, v42, s10
	s_wait_alu 0xfffd
	v_add_co_ci_u32_e32 v25, vcc_lo, s11, v43, vcc_lo
	global_load_b128 v[16:19], v159, s[16:17] offset:10080
	global_load_b128 v[42:45], v[42:43], off
	global_load_b128 v[20:23], v159, s[16:17] offset:17136
	global_load_b128 v[46:49], v[24:25], off
	s_load_b64 s[8:9], s[0:1], 0x38
	s_load_b128 s[4:7], s[6:7], 0x0
	v_cmp_gt_u16_e32 vcc_lo, 63, v74
	s_wait_loadcnt 0x7
	v_mul_f64_e32 v[50:51], v[28:29], v[10:11]
	v_mul_f64_e32 v[52:53], v[26:27], v[10:11]
	s_wait_loadcnt 0x6
	v_mul_f64_e32 v[54:55], v[32:33], v[2:3]
	v_mul_f64_e32 v[56:57], v[30:31], v[2:3]
	s_wait_loadcnt 0x5
	v_mul_f64_e32 v[58:59], v[36:37], v[6:7]
	s_wait_loadcnt 0x4
	v_mul_f64_e32 v[60:61], v[40:41], v[14:15]
	v_mul_f64_e32 v[62:63], v[38:39], v[14:15]
	;; [unrolled: 1-line block ×3, first 2 shown]
	s_wait_loadcnt 0x2
	v_mul_f64_e32 v[66:67], v[44:45], v[18:19]
	v_mul_f64_e32 v[68:69], v[42:43], v[18:19]
	s_wait_loadcnt 0x0
	v_mul_f64_e32 v[70:71], v[48:49], v[22:23]
	v_mul_f64_e32 v[72:73], v[46:47], v[22:23]
	v_fma_f64 v[26:27], v[26:27], v[8:9], v[50:51]
	v_fma_f64 v[28:29], v[28:29], v[8:9], -v[52:53]
	v_fma_f64 v[30:31], v[30:31], v[0:1], v[54:55]
	v_fma_f64 v[32:33], v[32:33], v[0:1], -v[56:57]
	v_fma_f64 v[34:35], v[34:35], v[4:5], v[58:59]
	v_fma_f64 v[38:39], v[38:39], v[12:13], v[60:61]
	v_fma_f64 v[40:41], v[40:41], v[12:13], -v[62:63]
	v_fma_f64 v[36:37], v[36:37], v[4:5], -v[64:65]
	ds_store_b128 v159, v[26:29]
	ds_store_b128 v159, v[38:41] offset:3024
	v_fma_f64 v[42:43], v[42:43], v[16:17], v[66:67]
	v_fma_f64 v[44:45], v[44:45], v[16:17], -v[68:69]
	v_fma_f64 v[46:47], v[46:47], v[20:21], v[70:71]
	v_fma_f64 v[48:49], v[48:49], v[20:21], -v[72:73]
	ds_store_b128 v159, v[30:33] offset:7056
	ds_store_b128 v159, v[42:45] offset:10080
	;; [unrolled: 1-line block ×4, first 2 shown]
	s_and_saveexec_b32 s12, vcc_lo
	s_cbranch_execz .LBB0_3
; %bb.2:
	v_add_co_u32 v24, s2, v24, s2
	s_wait_alu 0xf1ff
	v_add_co_ci_u32_e64 v25, s2, s3, v25, s2
	s_delay_alu instid0(VALU_DEP_2) | instskip(SKIP_1) | instid1(VALU_DEP_2)
	v_add_co_u32 v32, s2, v24, s10
	s_wait_alu 0xf1ff
	v_add_co_ci_u32_e64 v33, s2, s11, v25, s2
	global_load_b128 v[24:27], v[24:25], off
	v_add_co_u32 v44, s2, v32, s10
	s_wait_alu 0xf1ff
	v_add_co_ci_u32_e64 v45, s2, s11, v33, s2
	global_load_b128 v[28:31], v[157:158], off offset:6048
	global_load_b128 v[32:35], v[32:33], off
	s_clause 0x1
	global_load_b128 v[36:39], v[157:158], off offset:13104
	global_load_b128 v[40:43], v[157:158], off offset:20160
	global_load_b128 v[44:47], v[44:45], off
	s_wait_loadcnt 0x4
	v_mul_f64_e32 v[48:49], v[26:27], v[30:31]
	v_mul_f64_e32 v[30:31], v[24:25], v[30:31]
	s_wait_loadcnt 0x2
	v_mul_f64_e32 v[50:51], v[34:35], v[38:39]
	v_mul_f64_e32 v[38:39], v[32:33], v[38:39]
	;; [unrolled: 3-line block ×3, first 2 shown]
	v_fma_f64 v[24:25], v[24:25], v[28:29], v[48:49]
	v_fma_f64 v[26:27], v[26:27], v[28:29], -v[30:31]
	v_fma_f64 v[28:29], v[32:33], v[36:37], v[50:51]
	v_fma_f64 v[30:31], v[34:35], v[36:37], -v[38:39]
	;; [unrolled: 2-line block ×3, first 2 shown]
	ds_store_b128 v159, v[24:27] offset:6048
	ds_store_b128 v159, v[28:31] offset:13104
	;; [unrolled: 1-line block ×3, first 2 shown]
.LBB0_3:
	s_wait_alu 0xfffe
	s_or_b32 exec_lo, exec_lo, s12
	global_wb scope:SCOPE_SE
	s_wait_dscnt 0x0
	s_wait_kmcnt 0x0
	s_barrier_signal -1
	s_barrier_wait -1
	global_inv scope:SCOPE_SE
	ds_load_b128 v[36:39], v159
	ds_load_b128 v[32:35], v159 offset:3024
	ds_load_b128 v[48:51], v159 offset:7056
	;; [unrolled: 1-line block ×5, first 2 shown]
                                        ; implicit-def: $vgpr40_vgpr41
                                        ; implicit-def: $vgpr52_vgpr53
                                        ; implicit-def: $vgpr56_vgpr57
	s_and_saveexec_b32 s2, vcc_lo
	s_cbranch_execz .LBB0_5
; %bb.4:
	ds_load_b128 v[40:43], v159 offset:6048
	ds_load_b128 v[52:55], v159 offset:13104
	;; [unrolled: 1-line block ×3, first 2 shown]
.LBB0_5:
	s_wait_alu 0xfffe
	s_or_b32 exec_lo, exec_lo, s2
	s_wait_dscnt 0x1
	v_add_f64_e32 v[60:61], v[48:49], v[28:29]
	v_add_f64_e32 v[62:63], v[50:51], v[30:31]
	s_wait_dscnt 0x0
	v_add_f64_e32 v[64:65], v[44:45], v[24:25]
	v_add_f64_e32 v[66:67], v[46:47], v[26:27]
	;; [unrolled: 1-line block ×5, first 2 shown]
	v_add_f64_e64 v[74:75], v[50:51], -v[30:31]
	v_add_f64_e32 v[50:51], v[38:39], v[50:51]
	v_add_f64_e32 v[76:77], v[32:33], v[44:45]
	;; [unrolled: 1-line block ×5, first 2 shown]
	v_add_f64_e64 v[48:49], v[48:49], -v[28:29]
	v_add_f64_e64 v[46:47], v[46:47], -v[26:27]
	v_add_f64_e64 v[44:45], v[44:45], -v[24:25]
	s_mov_b32 s2, 0xe8584caa
	s_mov_b32 s3, 0x3febb67a
	;; [unrolled: 1-line block ×3, first 2 shown]
	s_wait_alu 0xfffe
	s_mov_b32 s10, s2
	s_load_b64 s[0:1], s[0:1], 0x8
	v_add_co_u32 v110, null, 0x17a, v160
	global_wb scope:SCOPE_SE
	s_wait_kmcnt 0x0
	s_barrier_signal -1
	s_barrier_wait -1
	v_mul_u32_u24_e32 v162, 3, v110
	global_inv scope:SCOPE_SE
	v_fma_f64 v[36:37], v[60:61], -0.5, v[36:37]
	v_fma_f64 v[38:39], v[62:63], -0.5, v[38:39]
	;; [unrolled: 1-line block ×4, first 2 shown]
	v_add_f64_e64 v[64:65], v[54:55], -v[58:59]
	v_fma_f64 v[66:67], v[68:69], -0.5, v[40:41]
	v_add_f64_e64 v[68:69], v[52:53], -v[56:57]
	v_fma_f64 v[70:71], v[70:71], -0.5, v[42:43]
	v_add_f64_e32 v[28:29], v[72:73], v[28:29]
	v_add_f64_e32 v[30:31], v[50:51], v[30:31]
	;; [unrolled: 1-line block ×6, first 2 shown]
	v_mul_lo_u16 v56, v160, 3
	s_delay_alu instid0(VALU_DEP_1) | instskip(NEXT) | instid1(VALU_DEP_1)
	v_and_b32_e32 v56, 0xffff, v56
	v_lshlrev_b32_e32 v163, 4, v56
	v_fma_f64 v[32:33], v[74:75], s[2:3], v[36:37]
	v_fma_f64 v[34:35], v[48:49], s[10:11], v[38:39]
	;; [unrolled: 1-line block ×12, first 2 shown]
	v_add_co_u32 v109, s2, 0xbd, v160
	s_wait_alu 0xf1ff
	v_add_co_ci_u32_e64 v57, null, 0, 0, s2
	s_delay_alu instid0(VALU_DEP_2) | instskip(NEXT) | instid1(VALU_DEP_1)
	v_mul_u32_u24_e32 v57, 3, v109
	v_lshlrev_b32_e32 v161, 4, v57
	ds_store_b128 v163, v[28:31]
	ds_store_b128 v163, v[32:35] offset:16
	ds_store_b128 v163, v[36:39] offset:32
	ds_store_b128 v161, v[24:27]
	ds_store_b128 v161, v[48:51] offset:16
	ds_store_b128 v161, v[52:55] offset:32
	s_and_saveexec_b32 s2, vcc_lo
	s_cbranch_execz .LBB0_7
; %bb.6:
	v_lshlrev_b32_e32 v24, 4, v162
	ds_store_b128 v24, v[40:43]
	ds_store_b128 v24, v[44:47] offset:16
	ds_store_b128 v24, v[64:67] offset:32
.LBB0_7:
	s_wait_alu 0xfffe
	s_or_b32 exec_lo, exec_lo, s2
	global_wb scope:SCOPE_SE
	s_wait_dscnt 0x0
	s_barrier_signal -1
	s_barrier_wait -1
	global_inv scope:SCOPE_SE
	ds_load_b128 v[60:63], v159
	ds_load_b128 v[56:59], v159 offset:3024
	ds_load_b128 v[76:79], v159 offset:7056
	;; [unrolled: 1-line block ×5, first 2 shown]
	s_and_saveexec_b32 s2, vcc_lo
	s_cbranch_execz .LBB0_9
; %bb.8:
	ds_load_b128 v[40:43], v159 offset:6048
	ds_load_b128 v[44:47], v159 offset:13104
	;; [unrolled: 1-line block ×3, first 2 shown]
.LBB0_9:
	s_wait_alu 0xfffe
	s_or_b32 exec_lo, exec_lo, s2
	v_and_b32_e32 v112, 0xffff, v109
	v_and_b32_e32 v108, 0xff, v160
	;; [unrolled: 1-line block ×3, first 2 shown]
	s_mov_b32 s2, 0xe8584caa
	s_mov_b32 s3, 0x3febb67a
	v_mul_u32_u24_e32 v24, 0xaaab, v112
	v_mul_lo_u16 v25, 0xab, v108
	v_mul_u32_u24_e32 v26, 0xaaab, v111
	s_wait_alu 0xfffe
	s_mov_b32 s10, s2
	v_lshrrev_b32_e32 v115, 17, v24
	v_lshrrev_b16 v116, 9, v25
	v_lshrrev_b32_e32 v117, 17, v26
	s_delay_alu instid0(VALU_DEP_3) | instskip(NEXT) | instid1(VALU_DEP_3)
	v_mul_lo_u16 v24, v115, 3
	v_mul_lo_u16 v25, v116, 3
	s_delay_alu instid0(VALU_DEP_3) | instskip(NEXT) | instid1(VALU_DEP_3)
	v_mul_lo_u16 v26, v117, 3
	v_sub_nc_u16 v118, v109, v24
	s_delay_alu instid0(VALU_DEP_3) | instskip(NEXT) | instid1(VALU_DEP_3)
	v_sub_nc_u16 v24, v160, v25
	v_sub_nc_u16 v119, v110, v26
	s_delay_alu instid0(VALU_DEP_3) | instskip(NEXT) | instid1(VALU_DEP_3)
	v_lshlrev_b16 v25, 1, v118
	v_and_b32_e32 v120, 0xff, v24
	s_delay_alu instid0(VALU_DEP_3) | instskip(SKIP_1) | instid1(VALU_DEP_4)
	v_lshlrev_b16 v24, 1, v119
	v_mad_u16 v164, v117, 9, v119
	v_and_b32_e32 v25, 0xffff, v25
	s_delay_alu instid0(VALU_DEP_4) | instskip(NEXT) | instid1(VALU_DEP_4)
	v_lshlrev_b32_e32 v26, 5, v120
	v_and_b32_e32 v24, 0xffff, v24
	s_clause 0x1
	global_load_b128 v[36:39], v26, s[0:1]
	global_load_b128 v[32:35], v26, s[0:1] offset:16
	v_lshlrev_b32_e32 v25, 4, v25
	v_lshlrev_b32_e32 v48, 4, v24
	s_clause 0x3
	global_load_b128 v[28:31], v25, s[0:1]
	global_load_b128 v[24:27], v25, s[0:1] offset:16
	global_load_b128 v[52:55], v48, s[0:1]
	global_load_b128 v[48:51], v48, s[0:1] offset:16
	global_wb scope:SCOPE_SE
	s_wait_loadcnt_dscnt 0x0
	s_barrier_signal -1
	s_barrier_wait -1
	global_inv scope:SCOPE_SE
	v_mul_f64_e32 v[84:85], v[78:79], v[38:39]
	v_mul_f64_e32 v[86:87], v[82:83], v[34:35]
	;; [unrolled: 1-line block ×12, first 2 shown]
	v_fma_f64 v[76:77], v[76:77], v[36:37], -v[84:85]
	v_fma_f64 v[80:81], v[80:81], v[32:33], -v[86:87]
	v_fma_f64 v[78:79], v[78:79], v[36:37], v[88:89]
	v_fma_f64 v[82:83], v[82:83], v[32:33], v[90:91]
	v_fma_f64 v[68:69], v[68:69], v[28:29], -v[92:93]
	v_fma_f64 v[72:73], v[72:73], v[24:25], -v[94:95]
	v_fma_f64 v[70:71], v[70:71], v[28:29], v[96:97]
	v_fma_f64 v[74:75], v[74:75], v[24:25], v[98:99]
	;; [unrolled: 4-line block ×3, first 2 shown]
	v_add_f64_e32 v[96:97], v[60:61], v[76:77]
	v_add_f64_e32 v[84:85], v[76:77], v[80:81]
	v_add_f64_e64 v[76:77], v[76:77], -v[80:81]
	v_add_f64_e32 v[86:87], v[78:79], v[82:83]
	v_add_f64_e64 v[98:99], v[78:79], -v[82:83]
	v_add_f64_e32 v[88:89], v[68:69], v[72:73]
	v_add_f64_e32 v[78:79], v[62:63], v[78:79]
	;; [unrolled: 1-line block ×9, first 2 shown]
	v_add_f64_e64 v[70:71], v[70:71], -v[74:75]
	v_add_f64_e64 v[113:114], v[44:45], -v[64:65]
	v_fma_f64 v[60:61], v[84:85], -0.5, v[60:61]
	v_fma_f64 v[62:63], v[86:87], -0.5, v[62:63]
	v_add_f64_e64 v[86:87], v[68:69], -v[72:73]
	v_fma_f64 v[84:85], v[88:89], -0.5, v[56:57]
	v_fma_f64 v[88:89], v[90:91], -0.5, v[58:59]
	v_add_f64_e64 v[90:91], v[46:47], -v[66:67]
	v_fma_f64 v[92:93], v[92:93], -0.5, v[40:41]
	v_add_f64_e32 v[40:41], v[96:97], v[80:81]
	v_fma_f64 v[94:95], v[94:95], -0.5, v[42:43]
	v_add_f64_e32 v[42:43], v[78:79], v[82:83]
	v_add_f64_e32 v[44:45], v[100:101], v[72:73]
	v_add_f64_e32 v[46:47], v[102:103], v[74:75]
	v_add_f64_e32 v[72:73], v[104:105], v[64:65]
	v_add_f64_e32 v[74:75], v[106:107], v[66:67]
	v_and_b32_e32 v80, 0xffff, v116
	v_mad_u16 v81, v115, 9, v118
	s_delay_alu instid0(VALU_DEP_2) | instskip(NEXT) | instid1(VALU_DEP_2)
	v_mul_u32_u24_e32 v80, 9, v80
	v_and_b32_e32 v81, 0xffff, v81
	s_delay_alu instid0(VALU_DEP_2) | instskip(NEXT) | instid1(VALU_DEP_2)
	v_add_lshl_u32 v166, v80, v120, 4
	v_lshlrev_b32_e32 v165, 4, v81
	v_fma_f64 v[56:57], v[98:99], s[2:3], v[60:61]
	s_wait_alu 0xfffe
	v_fma_f64 v[60:61], v[98:99], s[10:11], v[60:61]
	v_fma_f64 v[58:59], v[76:77], s[10:11], v[62:63]
	;; [unrolled: 1-line block ×11, first 2 shown]
	ds_store_b128 v166, v[40:43]
	ds_store_b128 v166, v[56:59] offset:48
	ds_store_b128 v166, v[60:63] offset:96
	ds_store_b128 v165, v[44:47]
	ds_store_b128 v165, v[64:67] offset:48
	ds_store_b128 v165, v[68:71] offset:96
	s_and_saveexec_b32 s2, vcc_lo
	s_cbranch_execz .LBB0_11
; %bb.10:
	v_and_b32_e32 v40, 0xffff, v164
	s_delay_alu instid0(VALU_DEP_1)
	v_lshlrev_b32_e32 v40, 4, v40
	ds_store_b128 v40, v[72:75]
	ds_store_b128 v40, v[76:79] offset:48
	ds_store_b128 v40, v[84:87] offset:96
.LBB0_11:
	s_wait_alu 0xfffe
	s_or_b32 exec_lo, exec_lo, s2
	global_wb scope:SCOPE_SE
	s_wait_dscnt 0x0
	s_barrier_signal -1
	s_barrier_wait -1
	global_inv scope:SCOPE_SE
	ds_load_b128 v[88:91], v159
	ds_load_b128 v[80:83], v159 offset:3024
	ds_load_b128 v[100:103], v159 offset:7056
	;; [unrolled: 1-line block ×5, first 2 shown]
	s_and_saveexec_b32 s2, vcc_lo
	s_cbranch_execz .LBB0_13
; %bb.12:
	ds_load_b128 v[72:75], v159 offset:6048
	ds_load_b128 v[76:79], v159 offset:13104
	;; [unrolled: 1-line block ×3, first 2 shown]
.LBB0_13:
	s_wait_alu 0xfffe
	s_or_b32 exec_lo, exec_lo, s2
	v_mul_lo_u16 v40, v108, 57
	v_mul_u32_u24_e32 v41, 0xe38f, v112
	v_mul_u32_u24_e32 v42, 0xe38f, v111
	s_delay_alu instid0(VALU_DEP_3) | instskip(NEXT) | instid1(VALU_DEP_3)
	v_lshrrev_b16 v139, 9, v40
	v_lshrrev_b32_e32 v140, 19, v41
	s_delay_alu instid0(VALU_DEP_3) | instskip(NEXT) | instid1(VALU_DEP_3)
	v_lshrrev_b32_e32 v141, 19, v42
	v_mul_lo_u16 v40, v139, 9
	s_delay_alu instid0(VALU_DEP_3) | instskip(NEXT) | instid1(VALU_DEP_3)
	v_mul_lo_u16 v41, v140, 9
	v_mul_lo_u16 v42, v141, 9
	s_delay_alu instid0(VALU_DEP_3) | instskip(NEXT) | instid1(VALU_DEP_3)
	v_sub_nc_u16 v40, v160, v40
	v_sub_nc_u16 v142, v109, v41
	s_delay_alu instid0(VALU_DEP_3) | instskip(NEXT) | instid1(VALU_DEP_3)
	v_sub_nc_u16 v143, v110, v42
	v_and_b32_e32 v144, 0xff, v40
	s_delay_alu instid0(VALU_DEP_3) | instskip(NEXT) | instid1(VALU_DEP_3)
	v_lshlrev_b16 v40, 5, v142
	v_lshlrev_b16 v41, 5, v143
	v_mad_u16 v167, v141, 27, v143
	s_delay_alu instid0(VALU_DEP_4) | instskip(NEXT) | instid1(VALU_DEP_4)
	v_lshlrev_b32_e32 v42, 5, v144
	v_and_b32_e32 v40, 0xffff, v40
	s_delay_alu instid0(VALU_DEP_4)
	v_and_b32_e32 v43, 0xffff, v41
	s_clause 0x1
	global_load_b128 v[56:59], v42, s[0:1] offset:112
	global_load_b128 v[60:63], v42, s[0:1] offset:96
	v_add_co_u32 v40, s2, s0, v40
	s_wait_alu 0xf1ff
	v_add_co_ci_u32_e64 v41, null, s1, 0, s2
	v_add_co_u32 v42, s2, s0, v43
	s_wait_alu 0xf1ff
	v_add_co_ci_u32_e64 v43, null, s1, 0, s2
	s_clause 0x3
	global_load_b128 v[68:71], v[40:41], off offset:96
	global_load_b128 v[64:67], v[40:41], off offset:112
	;; [unrolled: 1-line block ×4, first 2 shown]
	s_mov_b32 s2, 0xe8584caa
	s_mov_b32 s3, 0x3febb67a
	s_wait_alu 0xfffe
	s_mov_b32 s10, s2
	global_wb scope:SCOPE_SE
	s_wait_loadcnt_dscnt 0x0
	s_barrier_signal -1
	s_barrier_wait -1
	global_inv scope:SCOPE_SE
	v_mul_f64_e32 v[111:112], v[106:107], v[58:59]
	v_mul_f64_e32 v[109:110], v[102:103], v[62:63]
	;; [unrolled: 1-line block ×12, first 2 shown]
	v_fma_f64 v[104:105], v[104:105], v[56:57], -v[111:112]
	v_fma_f64 v[100:101], v[100:101], v[60:61], -v[109:110]
	v_fma_f64 v[102:103], v[102:103], v[60:61], v[113:114]
	v_fma_f64 v[106:107], v[106:107], v[56:57], v[115:116]
	v_fma_f64 v[109:110], v[92:93], v[68:69], -v[117:118]
	v_fma_f64 v[96:97], v[96:97], v[64:65], -v[119:120]
	;; [unrolled: 1-line block ×4, first 2 shown]
	v_fma_f64 v[84:85], v[78:79], v[44:45], v[129:130]
	v_fma_f64 v[78:79], v[86:87], v[40:41], v[131:132]
	;; [unrolled: 1-line block ×4, first 2 shown]
	v_add_f64_e32 v[86:87], v[100:101], v[104:105]
	v_add_f64_e32 v[121:122], v[88:89], v[100:101]
	;; [unrolled: 1-line block ×3, first 2 shown]
	v_add_f64_e64 v[123:124], v[102:103], -v[106:107]
	v_add_f64_e32 v[102:103], v[90:91], v[102:103]
	v_add_f64_e64 v[100:101], v[100:101], -v[104:105]
	v_add_f64_e32 v[125:126], v[80:81], v[109:110]
	v_add_f64_e32 v[113:114], v[109:110], v[96:97]
	v_add_f64_e64 v[131:132], v[109:110], -v[96:97]
	v_add_f64_e32 v[117:118], v[92:93], v[76:77]
	v_add_f64_e64 v[135:136], v[92:93], -v[76:77]
	v_add_f64_e32 v[119:120], v[84:85], v[78:79]
	v_add_f64_e32 v[127:128], v[82:83], v[94:95]
	;; [unrolled: 1-line block ×3, first 2 shown]
	v_add_f64_e64 v[133:134], v[84:85], -v[78:79]
	v_fma_f64 v[129:130], v[86:87], -0.5, v[88:89]
	v_fma_f64 v[90:91], v[111:112], -0.5, v[90:91]
	v_add_f64_e64 v[111:112], v[94:95], -v[98:99]
	v_add_f64_e32 v[86:87], v[125:126], v[96:97]
	v_fma_f64 v[113:114], v[113:114], -0.5, v[80:81]
	v_add_f64_e32 v[80:81], v[121:122], v[104:105]
	v_fma_f64 v[117:118], v[117:118], -0.5, v[72:73]
	v_fma_f64 v[137:138], v[119:120], -0.5, v[74:75]
	v_add_f64_e32 v[88:89], v[127:128], v[98:99]
	v_fma_f64 v[115:116], v[115:116], -0.5, v[82:83]
	v_add_f64_e32 v[82:83], v[102:103], v[106:107]
	v_fma_f64 v[94:95], v[123:124], s[2:3], v[129:130]
	s_wait_alu 0xfffe
	v_fma_f64 v[98:99], v[123:124], s[10:11], v[129:130]
	v_fma_f64 v[96:97], v[100:101], s[10:11], v[90:91]
	;; [unrolled: 1-line block ×3, first 2 shown]
	v_and_b32_e32 v90, 0xffff, v139
	v_mad_u16 v91, v140, 27, v142
	v_fma_f64 v[102:103], v[111:112], s[2:3], v[113:114]
	v_fma_f64 v[109:110], v[111:112], s[10:11], v[113:114]
	;; [unrolled: 1-line block ×8, first 2 shown]
	v_mul_u32_u24_e32 v90, 27, v90
	v_and_b32_e32 v91, 0xffff, v91
	s_delay_alu instid0(VALU_DEP_2) | instskip(NEXT) | instid1(VALU_DEP_2)
	v_add_lshl_u32 v169, v90, v144, 4
	v_lshlrev_b32_e32 v168, 4, v91
	ds_store_b128 v169, v[80:83]
	ds_store_b128 v169, v[94:97] offset:144
	ds_store_b128 v169, v[98:101] offset:288
	ds_store_b128 v168, v[86:89]
	ds_store_b128 v168, v[102:105] offset:144
	ds_store_b128 v168, v[109:112] offset:288
	s_and_saveexec_b32 s2, vcc_lo
	s_cbranch_execz .LBB0_15
; %bb.14:
	v_add_f64_e32 v[74:75], v[74:75], v[84:85]
	v_add_f64_e32 v[72:73], v[72:73], v[92:93]
	s_delay_alu instid0(VALU_DEP_2) | instskip(NEXT) | instid1(VALU_DEP_2)
	v_add_f64_e32 v[74:75], v[74:75], v[78:79]
	v_add_f64_e32 v[72:73], v[72:73], v[76:77]
	v_and_b32_e32 v76, 0xffff, v167
	s_delay_alu instid0(VALU_DEP_1)
	v_lshlrev_b32_e32 v76, 4, v76
	ds_store_b128 v76, v[72:75]
	ds_store_b128 v76, v[120:123] offset:144
	ds_store_b128 v76, v[124:127] offset:288
.LBB0_15:
	s_wait_alu 0xfffe
	s_or_b32 exec_lo, exec_lo, s2
	v_mul_lo_u16 v72, v108, 19
	global_wb scope:SCOPE_SE
	s_wait_dscnt 0x0
	s_barrier_signal -1
	s_barrier_wait -1
	global_inv scope:SCOPE_SE
	v_lshrrev_b16 v152, 9, v72
	s_mov_b32 s10, 0x37e14327
	s_mov_b32 s12, 0xe976ee23
	;; [unrolled: 1-line block ×4, first 2 shown]
	v_mul_lo_u16 v72, v152, 27
	s_mov_b32 s2, 0x429ad128
	s_mov_b32 s3, 0x3febfeb5
	;; [unrolled: 1-line block ×4, first 2 shown]
	v_sub_nc_u16 v72, v160, v72
	s_mov_b32 s18, 0xaaaaaaaa
	s_mov_b32 s24, 0xb247c609
	;; [unrolled: 1-line block ×4, first 2 shown]
	v_and_b32_e32 v153, 0xff, v72
	s_mov_b32 s25, 0x3fd5d0dc
	s_mov_b32 s21, 0x3fe77f67
	s_mov_b32 s23, 0xbfe77f67
	s_mov_b32 s27, 0xbfd5d0dc
	v_mad_co_u64_u32 v[84:85], null, 0x60, v153, s[0:1]
	s_mov_b32 s22, s20
	s_mov_b32 s26, s24
	;; [unrolled: 1-line block ×4, first 2 shown]
	s_clause 0x5
	global_load_b128 v[76:79], v[84:85], off offset:384
	global_load_b128 v[72:75], v[84:85], off offset:400
	;; [unrolled: 1-line block ×6, first 2 shown]
	ds_load_b128 v[96:99], v159 offset:3024
	ds_load_b128 v[100:103], v159 offset:6048
	;; [unrolled: 1-line block ×6, first 2 shown]
	s_wait_loadcnt_dscnt 0x505
	v_mul_f64_e32 v[128:129], v[98:99], v[78:79]
	v_mul_f64_e32 v[130:131], v[96:97], v[78:79]
	s_wait_loadcnt_dscnt 0x404
	v_mul_f64_e32 v[132:133], v[102:103], v[74:75]
	v_mul_f64_e32 v[134:135], v[100:101], v[74:75]
	;; [unrolled: 3-line block ×6, first 2 shown]
	v_fma_f64 v[96:97], v[96:97], v[76:77], -v[128:129]
	v_fma_f64 v[98:99], v[98:99], v[76:77], v[130:131]
	v_fma_f64 v[100:101], v[100:101], v[72:73], -v[132:133]
	v_fma_f64 v[102:103], v[102:103], v[72:73], v[134:135]
	;; [unrolled: 2-line block ×6, first 2 shown]
	v_add_f64_e32 v[128:129], v[96:97], v[104:105]
	v_add_f64_e32 v[130:131], v[98:99], v[106:107]
	;; [unrolled: 1-line block ×4, first 2 shown]
	v_add_f64_e64 v[100:101], v[100:101], -v[108:109]
	v_add_f64_e64 v[102:103], v[102:103], -v[110:111]
	v_add_f64_e32 v[108:109], v[112:113], v[116:117]
	v_add_f64_e32 v[110:111], v[114:115], v[118:119]
	v_add_f64_e64 v[112:113], v[116:117], -v[112:113]
	v_add_f64_e64 v[114:115], v[118:119], -v[114:115]
	;; [unrolled: 1-line block ×4, first 2 shown]
	v_add_f64_e32 v[96:97], v[132:133], v[128:129]
	v_add_f64_e32 v[98:99], v[134:135], v[130:131]
	v_add_f64_e64 v[116:117], v[128:129], -v[108:109]
	v_add_f64_e64 v[118:119], v[130:131], -v[110:111]
	v_add_f64_e64 v[136:137], v[112:113], -v[100:101]
	v_add_f64_e64 v[138:139], v[114:115], -v[102:103]
	v_add_f64_e64 v[140:141], v[100:101], -v[104:105]
	v_add_f64_e64 v[142:143], v[102:103], -v[106:107]
	v_add_f64_e32 v[100:101], v[112:113], v[100:101]
	v_add_f64_e32 v[102:103], v[114:115], v[102:103]
	v_add_f64_e64 v[112:113], v[104:105], -v[112:113]
	v_add_f64_e64 v[114:115], v[106:107], -v[114:115]
	;; [unrolled: 1-line block ×4, first 2 shown]
	v_add_f64_e32 v[144:145], v[108:109], v[96:97]
	v_add_f64_e32 v[146:147], v[110:111], v[98:99]
	v_add_f64_e64 v[108:109], v[108:109], -v[132:133]
	v_add_f64_e64 v[110:111], v[110:111], -v[134:135]
	ds_load_b128 v[96:99], v159
	s_wait_alu 0xfffe
	v_mul_f64_e32 v[116:117], s[10:11], v[116:117]
	v_mul_f64_e32 v[118:119], s[10:11], v[118:119]
	;; [unrolled: 1-line block ×6, first 2 shown]
	v_add_f64_e32 v[100:101], v[100:101], v[104:105]
	v_add_f64_e32 v[102:103], v[102:103], v[106:107]
	global_wb scope:SCOPE_SE
	s_wait_dscnt 0x0
	s_barrier_signal -1
	s_barrier_wait -1
	global_inv scope:SCOPE_SE
	v_add_f64_e32 v[96:97], v[96:97], v[144:145]
	v_add_f64_e32 v[98:99], v[98:99], v[146:147]
	v_mul_f64_e32 v[132:133], s[14:15], v[108:109]
	v_mul_f64_e32 v[134:135], s[14:15], v[110:111]
	v_fma_f64 v[104:105], v[108:109], s[14:15], v[116:117]
	v_fma_f64 v[106:107], v[110:111], s[14:15], v[118:119]
	;; [unrolled: 1-line block ×4, first 2 shown]
	v_fma_f64 v[136:137], v[140:141], s[2:3], -v[136:137]
	v_fma_f64 v[138:139], v[142:143], s[2:3], -v[138:139]
	;; [unrolled: 1-line block ×6, first 2 shown]
	v_fma_f64 v[140:141], v[144:145], s[18:19], v[96:97]
	v_fma_f64 v[142:143], v[146:147], s[18:19], v[98:99]
	v_fma_f64 v[128:129], v[128:129], s[20:21], -v[132:133]
	v_fma_f64 v[130:131], v[130:131], s[20:21], -v[134:135]
	v_fma_f64 v[132:133], v[100:101], s[28:29], v[108:109]
	v_fma_f64 v[134:135], v[102:103], s[28:29], v[110:111]
	;; [unrolled: 1-line block ×6, first 2 shown]
	v_add_f64_e32 v[148:149], v[104:105], v[140:141]
	v_add_f64_e32 v[150:151], v[106:107], v[142:143]
	;; [unrolled: 1-line block ×7, first 2 shown]
	v_add_f64_e64 v[102:103], v[150:151], -v[132:133]
	v_add_f64_e32 v[104:105], v[146:147], v[116:117]
	v_add_f64_e64 v[106:107], v[118:119], -v[144:145]
	v_add_f64_e64 v[108:109], v[112:113], -v[138:139]
	v_add_f64_e32 v[110:111], v[136:137], v[114:115]
	v_add_f64_e32 v[112:113], v[138:139], v[112:113]
	v_add_f64_e64 v[114:115], v[114:115], -v[136:137]
	v_add_f64_e64 v[116:117], v[116:117], -v[146:147]
	v_add_f64_e32 v[118:119], v[144:145], v[118:119]
	v_add_f64_e64 v[128:129], v[148:149], -v[134:135]
	v_add_f64_e32 v[130:131], v[132:133], v[150:151]
	v_and_b32_e32 v132, 0xffff, v152
	s_delay_alu instid0(VALU_DEP_1) | instskip(SKIP_2) | instid1(VALU_DEP_2)
	v_mul_u32_u24_e32 v134, 0xbd, v132
	v_mad_co_u64_u32 v[132:133], null, 0x60, v160, s[0:1]
	s_add_nc_u64 s[0:1], s[16:17], 0x52b0
	v_add_lshl_u32 v170, v134, v153, 4
	ds_store_b128 v170, v[96:99]
	ds_store_b128 v170, v[100:103] offset:432
	ds_store_b128 v170, v[104:107] offset:864
	;; [unrolled: 1-line block ×6, first 2 shown]
	global_wb scope:SCOPE_SE
	s_wait_dscnt 0x0
	s_barrier_signal -1
	s_barrier_wait -1
	global_inv scope:SCOPE_SE
	s_clause 0x5
	global_load_b128 v[100:103], v[132:133], off offset:2976
	global_load_b128 v[96:99], v[132:133], off offset:2992
	;; [unrolled: 1-line block ×6, first 2 shown]
	ds_load_b128 v[128:131], v159 offset:3024
	ds_load_b128 v[132:135], v159 offset:6048
	;; [unrolled: 1-line block ×6, first 2 shown]
	s_wait_loadcnt_dscnt 0x505
	v_mul_f64_e32 v[152:153], v[130:131], v[102:103]
	v_mul_f64_e32 v[154:155], v[128:129], v[102:103]
	s_wait_loadcnt_dscnt 0x404
	v_mul_f64_e32 v[171:172], v[134:135], v[98:99]
	v_mul_f64_e32 v[173:174], v[132:133], v[98:99]
	;; [unrolled: 3-line block ×6, first 2 shown]
	v_fma_f64 v[128:129], v[128:129], v[100:101], -v[152:153]
	v_fma_f64 v[130:131], v[130:131], v[100:101], v[154:155]
	v_fma_f64 v[132:133], v[132:133], v[96:97], -v[171:172]
	v_fma_f64 v[134:135], v[134:135], v[96:97], v[173:174]
	;; [unrolled: 2-line block ×6, first 2 shown]
	v_add_f64_e32 v[152:153], v[128:129], v[136:137]
	v_add_f64_e32 v[154:155], v[130:131], v[138:139]
	v_add_f64_e32 v[171:172], v[132:133], v[140:141]
	v_add_f64_e32 v[173:174], v[134:135], v[142:143]
	v_add_f64_e64 v[132:133], v[132:133], -v[140:141]
	v_add_f64_e64 v[134:135], v[134:135], -v[142:143]
	v_add_f64_e32 v[140:141], v[144:145], v[148:149]
	v_add_f64_e32 v[142:143], v[146:147], v[150:151]
	v_add_f64_e64 v[144:145], v[148:149], -v[144:145]
	v_add_f64_e64 v[146:147], v[150:151], -v[146:147]
	;; [unrolled: 1-line block ×4, first 2 shown]
	v_add_f64_e32 v[128:129], v[171:172], v[152:153]
	v_add_f64_e32 v[130:131], v[173:174], v[154:155]
	v_add_f64_e64 v[148:149], v[152:153], -v[140:141]
	v_add_f64_e64 v[150:151], v[154:155], -v[142:143]
	;; [unrolled: 1-line block ×6, first 2 shown]
	v_add_f64_e32 v[187:188], v[144:145], v[132:133]
	v_add_f64_e32 v[189:190], v[146:147], v[134:135]
	v_add_f64_e64 v[144:145], v[136:137], -v[144:145]
	v_add_f64_e64 v[146:147], v[138:139], -v[146:147]
	v_add_f64_e32 v[183:184], v[140:141], v[128:129]
	v_add_f64_e32 v[185:186], v[142:143], v[130:131]
	v_add_f64_e64 v[140:141], v[140:141], -v[171:172]
	v_add_f64_e64 v[142:143], v[142:143], -v[173:174]
	ds_load_b128 v[128:131], v159
	v_mul_f64_e32 v[148:149], s[10:11], v[148:149]
	v_mul_f64_e32 v[150:151], s[10:11], v[150:151]
	;; [unrolled: 1-line block ×6, first 2 shown]
	v_add_f64_e32 v[136:137], v[187:188], v[136:137]
	v_add_f64_e32 v[138:139], v[189:190], v[138:139]
	s_wait_dscnt 0x0
	v_add_f64_e32 v[132:133], v[128:129], v[183:184]
	v_add_f64_e32 v[134:135], v[130:131], v[185:186]
	v_add_f64_e64 v[128:129], v[171:172], -v[152:153]
	v_add_f64_e64 v[130:131], v[173:174], -v[154:155]
	v_mul_f64_e32 v[152:153], s[14:15], v[140:141]
	v_mul_f64_e32 v[154:155], s[14:15], v[142:143]
	v_fma_f64 v[140:141], v[140:141], s[14:15], v[148:149]
	v_fma_f64 v[142:143], v[142:143], s[14:15], v[150:151]
	;; [unrolled: 1-line block ×4, first 2 shown]
	v_fma_f64 v[175:176], v[179:180], s[2:3], -v[175:176]
	v_fma_f64 v[177:178], v[181:182], s[2:3], -v[177:178]
	;; [unrolled: 1-line block ×4, first 2 shown]
	v_fma_f64 v[179:180], v[183:184], s[18:19], v[132:133]
	v_fma_f64 v[181:182], v[185:186], s[18:19], v[134:135]
	v_fma_f64 v[148:149], v[128:129], s[22:23], -v[148:149]
	v_fma_f64 v[150:151], v[130:131], s[22:23], -v[150:151]
	;; [unrolled: 1-line block ×4, first 2 shown]
	v_fma_f64 v[171:172], v[136:137], s[28:29], v[171:172]
	v_fma_f64 v[173:174], v[138:139], s[28:29], v[173:174]
	v_fma_f64 v[152:153], v[136:137], s[28:29], v[175:176]
	v_fma_f64 v[154:155], v[138:139], s[28:29], v[177:178]
	v_fma_f64 v[175:176], v[136:137], s[28:29], v[144:145]
	v_fma_f64 v[177:178], v[138:139], s[28:29], v[146:147]
	v_add_f64_e32 v[183:184], v[140:141], v[179:180]
	v_add_f64_e32 v[185:186], v[142:143], v[181:182]
	;; [unrolled: 1-line block ×7, first 2 shown]
	v_add_f64_e64 v[138:139], v[185:186], -v[171:172]
	v_add_f64_e32 v[140:141], v[177:178], v[187:188]
	v_add_f64_e64 v[142:143], v[189:190], -v[175:176]
	v_add_f64_e64 v[144:145], v[128:129], -v[154:155]
	v_add_f64_e32 v[146:147], v[152:153], v[130:131]
	v_add_f64_e32 v[148:149], v[154:155], v[128:129]
	v_add_f64_e64 v[150:151], v[130:131], -v[152:153]
	v_add_f64_e64 v[152:153], v[187:188], -v[177:178]
	v_add_f64_e32 v[154:155], v[175:176], v[189:190]
	v_add_f64_e64 v[128:129], v[183:184], -v[173:174]
	v_add_f64_e32 v[130:131], v[171:172], v[185:186]
	ds_store_b128 v159, v[132:135]
	ds_store_b128 v159, v[136:139] offset:3024
	ds_store_b128 v159, v[140:143] offset:6048
	;; [unrolled: 1-line block ×6, first 2 shown]
	global_wb scope:SCOPE_SE
	s_wait_dscnt 0x0
	s_barrier_signal -1
	s_barrier_wait -1
	global_inv scope:SCOPE_SE
	s_clause 0x5
	global_load_b128 v[132:135], v[157:158], off offset:21168
	global_load_b128 v[136:139], v159, s[0:1] offset:7056
	global_load_b128 v[140:143], v159, s[0:1] offset:14112
	global_load_b128 v[144:147], v159, s[0:1] offset:3024
	global_load_b128 v[148:151], v159, s[0:1] offset:10080
	global_load_b128 v[152:155], v159, s[0:1] offset:17136
	ds_load_b128 v[171:174], v159
	ds_load_b128 v[175:178], v159 offset:7056
	ds_load_b128 v[179:182], v159 offset:14112
	;; [unrolled: 1-line block ×5, first 2 shown]
	s_wait_loadcnt_dscnt 0x505
	v_mul_f64_e32 v[195:196], v[173:174], v[134:135]
	v_mul_f64_e32 v[134:135], v[171:172], v[134:135]
	s_wait_loadcnt_dscnt 0x404
	v_mul_f64_e32 v[197:198], v[177:178], v[138:139]
	v_mul_f64_e32 v[138:139], v[175:176], v[138:139]
	;; [unrolled: 3-line block ×6, first 2 shown]
	v_fma_f64 v[171:172], v[171:172], v[132:133], -v[195:196]
	v_fma_f64 v[173:174], v[173:174], v[132:133], v[134:135]
	v_fma_f64 v[132:133], v[175:176], v[136:137], -v[197:198]
	v_fma_f64 v[134:135], v[177:178], v[136:137], v[138:139]
	;; [unrolled: 2-line block ×6, first 2 shown]
	ds_store_b128 v159, v[171:174]
	ds_store_b128 v159, v[140:143] offset:3024
	ds_store_b128 v159, v[132:135] offset:7056
	;; [unrolled: 1-line block ×5, first 2 shown]
	s_and_saveexec_b32 s2, vcc_lo
	s_cbranch_execz .LBB0_17
; %bb.16:
	s_wait_alu 0xfffe
	v_add_co_u32 v140, s0, s0, v159
	s_wait_alu 0xf1ff
	v_add_co_ci_u32_e64 v141, null, s1, 0, s0
	s_clause 0x2
	global_load_b128 v[132:135], v[140:141], off offset:6048
	global_load_b128 v[136:139], v[140:141], off offset:13104
	;; [unrolled: 1-line block ×3, first 2 shown]
	ds_load_b128 v[144:147], v159 offset:6048
	ds_load_b128 v[148:151], v159 offset:13104
	ds_load_b128 v[152:155], v159 offset:20160
	s_wait_loadcnt_dscnt 0x202
	v_mul_f64_e32 v[171:172], v[146:147], v[134:135]
	v_mul_f64_e32 v[134:135], v[144:145], v[134:135]
	s_wait_loadcnt_dscnt 0x101
	v_mul_f64_e32 v[173:174], v[150:151], v[138:139]
	v_mul_f64_e32 v[138:139], v[148:149], v[138:139]
	;; [unrolled: 3-line block ×3, first 2 shown]
	v_fma_f64 v[142:143], v[144:145], v[132:133], -v[171:172]
	v_fma_f64 v[144:145], v[146:147], v[132:133], v[134:135]
	v_fma_f64 v[132:133], v[148:149], v[136:137], -v[173:174]
	v_fma_f64 v[134:135], v[150:151], v[136:137], v[138:139]
	;; [unrolled: 2-line block ×3, first 2 shown]
	ds_store_b128 v159, v[142:145] offset:6048
	ds_store_b128 v159, v[132:135] offset:13104
	ds_store_b128 v159, v[136:139] offset:20160
.LBB0_17:
	s_wait_alu 0xfffe
	s_or_b32 exec_lo, exec_lo, s2
	global_wb scope:SCOPE_SE
	s_wait_dscnt 0x0
	s_barrier_signal -1
	s_barrier_wait -1
	global_inv scope:SCOPE_SE
	ds_load_b128 v[144:147], v159
	ds_load_b128 v[140:143], v159 offset:3024
	ds_load_b128 v[152:155], v159 offset:7056
	;; [unrolled: 1-line block ×5, first 2 shown]
	s_and_saveexec_b32 s0, vcc_lo
	s_cbranch_execz .LBB0_19
; %bb.18:
	ds_load_b128 v[128:131], v159 offset:6048
	ds_load_b128 v[120:123], v159 offset:13104
	;; [unrolled: 1-line block ×3, first 2 shown]
.LBB0_19:
	s_wait_alu 0xfffe
	s_or_b32 exec_lo, exec_lo, s0
	s_wait_dscnt 0x1
	v_add_f64_e32 v[171:172], v[152:153], v[136:137]
	s_wait_dscnt 0x0
	v_add_f64_e32 v[175:176], v[148:149], v[132:133]
	v_add_f64_e32 v[177:178], v[150:151], v[134:135]
	;; [unrolled: 1-line block ×6, first 2 shown]
	v_add_f64_e64 v[185:186], v[154:155], -v[138:139]
	v_add_f64_e32 v[154:155], v[146:147], v[154:155]
	v_add_f64_e32 v[187:188], v[140:141], v[148:149]
	;; [unrolled: 1-line block ×5, first 2 shown]
	v_add_f64_e64 v[195:196], v[120:121], -v[124:125]
	v_add_f64_e64 v[152:153], v[152:153], -v[136:137]
	;; [unrolled: 1-line block ×3, first 2 shown]
	s_mov_b32 s0, 0xe8584caa
	s_mov_b32 s1, 0xbfebb67a
	;; [unrolled: 1-line block ×3, first 2 shown]
	s_wait_alu 0xfffe
	s_mov_b32 s2, s0
	global_wb scope:SCOPE_SE
	s_barrier_signal -1
	s_barrier_wait -1
	global_inv scope:SCOPE_SE
	v_fma_f64 v[144:145], v[171:172], -0.5, v[144:145]
	v_fma_f64 v[171:172], v[175:176], -0.5, v[140:141]
	;; [unrolled: 1-line block ×3, first 2 shown]
	v_add_f64_e64 v[177:178], v[122:123], -v[126:127]
	v_fma_f64 v[179:180], v[179:180], -0.5, v[128:129]
	v_fma_f64 v[181:182], v[181:182], -0.5, v[130:131]
	;; [unrolled: 1-line block ×3, first 2 shown]
	v_add_f64_e64 v[173:174], v[148:149], -v[132:133]
	v_add_f64_e32 v[128:129], v[183:184], v[136:137]
	v_add_f64_e32 v[130:131], v[154:155], v[138:139]
	;; [unrolled: 1-line block ×6, first 2 shown]
	v_fma_f64 v[124:125], v[185:186], s[0:1], v[144:145]
	s_wait_alu 0xfffe
	v_fma_f64 v[144:145], v[185:186], s[2:3], v[144:145]
	v_fma_f64 v[148:149], v[150:151], s[0:1], v[171:172]
	;; [unrolled: 1-line block ×11, first 2 shown]
	ds_store_b128 v163, v[128:131]
	ds_store_b128 v163, v[124:127] offset:16
	ds_store_b128 v163, v[144:147] offset:32
	ds_store_b128 v161, v[140:143]
	ds_store_b128 v161, v[148:151] offset:16
	ds_store_b128 v161, v[152:155] offset:32
	s_and_saveexec_b32 s0, vcc_lo
	s_cbranch_execz .LBB0_21
; %bb.20:
	v_lshlrev_b32_e32 v124, 4, v162
	ds_store_b128 v124, v[120:123]
	ds_store_b128 v124, v[132:135] offset:16
	ds_store_b128 v124, v[136:139] offset:32
.LBB0_21:
	s_wait_alu 0xfffe
	s_or_b32 exec_lo, exec_lo, s0
	global_wb scope:SCOPE_SE
	s_wait_dscnt 0x0
	s_barrier_signal -1
	s_barrier_wait -1
	global_inv scope:SCOPE_SE
	ds_load_b128 v[128:131], v159
	ds_load_b128 v[124:127], v159 offset:3024
	ds_load_b128 v[148:151], v159 offset:7056
	;; [unrolled: 1-line block ×5, first 2 shown]
	s_and_saveexec_b32 s0, vcc_lo
	s_cbranch_execz .LBB0_23
; %bb.22:
	ds_load_b128 v[120:123], v159 offset:6048
	ds_load_b128 v[132:135], v159 offset:13104
	;; [unrolled: 1-line block ×3, first 2 shown]
.LBB0_23:
	s_wait_alu 0xfffe
	s_or_b32 exec_lo, exec_lo, s0
	s_wait_dscnt 0x3
	v_mul_f64_e32 v[161:162], v[38:39], v[150:151]
	s_wait_dscnt 0x1
	v_mul_f64_e32 v[171:172], v[34:35], v[154:155]
	v_mul_f64_e32 v[38:39], v[38:39], v[148:149]
	;; [unrolled: 1-line block ×4, first 2 shown]
	s_wait_dscnt 0x0
	v_mul_f64_e32 v[175:176], v[26:27], v[146:147]
	v_mul_f64_e32 v[30:31], v[30:31], v[140:141]
	;; [unrolled: 1-line block ×7, first 2 shown]
	s_mov_b32 s0, 0xe8584caa
	s_mov_b32 s1, 0xbfebb67a
	s_wait_alu 0xfffe
	s_mov_b32 s2, s0
	global_wb scope:SCOPE_SE
	s_barrier_signal -1
	s_barrier_wait -1
	global_inv scope:SCOPE_SE
	v_fma_f64 v[148:149], v[36:37], v[148:149], v[161:162]
	v_fma_f64 v[152:153], v[32:33], v[152:153], v[171:172]
	v_fma_f64 v[36:37], v[36:37], v[150:151], -v[38:39]
	v_fma_f64 v[32:33], v[32:33], v[154:155], -v[34:35]
	v_fma_f64 v[34:35], v[28:29], v[140:141], v[173:174]
	v_fma_f64 v[140:141], v[24:25], v[144:145], v[175:176]
	v_fma_f64 v[28:29], v[28:29], v[142:143], -v[30:31]
	v_fma_f64 v[24:25], v[24:25], v[146:147], -v[26:27]
	;; [unrolled: 4-line block ×3, first 2 shown]
	v_add_f64_e32 v[138:139], v[128:129], v[148:149]
	v_add_f64_e32 v[48:49], v[148:149], v[152:153]
	v_add_f64_e32 v[144:145], v[130:131], v[36:37]
	v_add_f64_e32 v[50:51], v[36:37], v[32:33]
	v_add_f64_e64 v[142:143], v[36:37], -v[32:33]
	v_add_f64_e32 v[54:55], v[34:35], v[140:141]
	v_add_f64_e32 v[146:147], v[124:125], v[34:35]
	;; [unrolled: 1-line block ×8, first 2 shown]
	v_add_f64_e64 v[148:149], v[148:149], -v[152:153]
	v_add_f64_e64 v[28:29], v[28:29], -v[24:25]
	;; [unrolled: 1-line block ×5, first 2 shown]
	v_add_f64_e32 v[36:37], v[138:139], v[152:153]
	v_fma_f64 v[128:129], v[48:49], -0.5, v[128:129]
	v_add_f64_e32 v[38:39], v[144:145], v[32:33]
	v_fma_f64 v[130:131], v[50:51], -0.5, v[130:131]
	v_fma_f64 v[171:172], v[54:55], -0.5, v[124:125]
	v_add_f64_e32 v[48:49], v[146:147], v[140:141]
	v_fma_f64 v[132:133], v[132:133], -0.5, v[126:127]
	v_add_f64_e32 v[50:51], v[150:151], v[24:25]
	;; [unrolled: 2-line block ×4, first 2 shown]
	v_fma_f64 v[52:53], v[142:143], s[0:1], v[128:129]
	s_wait_alu 0xfffe
	v_fma_f64 v[120:121], v[142:143], s[2:3], v[128:129]
	v_fma_f64 v[54:55], v[148:149], s[2:3], v[130:131]
	;; [unrolled: 1-line block ×11, first 2 shown]
	ds_store_b128 v166, v[36:39]
	ds_store_b128 v166, v[52:55] offset:48
	ds_store_b128 v166, v[120:123] offset:96
	ds_store_b128 v165, v[48:51]
	ds_store_b128 v165, v[124:127] offset:48
	ds_store_b128 v165, v[128:131] offset:96
	s_and_saveexec_b32 s0, vcc_lo
	s_cbranch_execz .LBB0_25
; %bb.24:
	v_and_b32_e32 v36, 0xffff, v164
	s_delay_alu instid0(VALU_DEP_1)
	v_lshlrev_b32_e32 v36, 4, v36
	ds_store_b128 v36, v[24:27]
	ds_store_b128 v36, v[28:31] offset:48
	ds_store_b128 v36, v[32:35] offset:96
.LBB0_25:
	s_wait_alu 0xfffe
	s_or_b32 exec_lo, exec_lo, s0
	global_wb scope:SCOPE_SE
	s_wait_dscnt 0x0
	s_barrier_signal -1
	s_barrier_wait -1
	global_inv scope:SCOPE_SE
	ds_load_b128 v[48:51], v159
	ds_load_b128 v[36:39], v159 offset:3024
	ds_load_b128 v[124:127], v159 offset:7056
	;; [unrolled: 1-line block ×5, first 2 shown]
	s_and_saveexec_b32 s0, vcc_lo
	s_cbranch_execz .LBB0_27
; %bb.26:
	ds_load_b128 v[24:27], v159 offset:6048
	ds_load_b128 v[28:31], v159 offset:13104
	;; [unrolled: 1-line block ×3, first 2 shown]
.LBB0_27:
	s_wait_alu 0xfffe
	s_or_b32 exec_lo, exec_lo, s0
	s_wait_dscnt 0x3
	v_mul_f64_e32 v[132:133], v[62:63], v[126:127]
	s_wait_dscnt 0x1
	v_mul_f64_e32 v[134:135], v[58:59], v[130:131]
	v_mul_f64_e32 v[62:63], v[62:63], v[124:125]
	;; [unrolled: 1-line block ×4, first 2 shown]
	s_wait_dscnt 0x0
	v_mul_f64_e32 v[138:139], v[66:67], v[122:123]
	v_mul_f64_e32 v[70:71], v[70:71], v[52:53]
	;; [unrolled: 1-line block ×3, first 2 shown]
	s_mov_b32 s0, 0xe8584caa
	s_mov_b32 s1, 0xbfebb67a
	s_wait_alu 0xfffe
	s_mov_b32 s2, s0
	global_wb scope:SCOPE_SE
	s_barrier_signal -1
	s_barrier_wait -1
	global_inv scope:SCOPE_SE
	v_fma_f64 v[124:125], v[60:61], v[124:125], v[132:133]
	v_fma_f64 v[128:129], v[56:57], v[128:129], v[134:135]
	v_fma_f64 v[60:61], v[60:61], v[126:127], -v[62:63]
	v_fma_f64 v[56:57], v[56:57], v[130:131], -v[58:59]
	v_fma_f64 v[52:53], v[68:69], v[52:53], v[136:137]
	v_fma_f64 v[58:59], v[64:65], v[120:121], v[138:139]
	v_fma_f64 v[54:55], v[68:69], v[54:55], -v[70:71]
	v_fma_f64 v[62:63], v[64:65], v[122:123], -v[66:67]
	v_add_f64_e32 v[120:121], v[48:49], v[124:125]
	v_add_f64_e32 v[64:65], v[124:125], v[128:129]
	v_add_f64_e64 v[124:125], v[124:125], -v[128:129]
	v_add_f64_e32 v[66:67], v[60:61], v[56:57]
	v_add_f64_e64 v[122:123], v[60:61], -v[56:57]
	v_add_f64_e32 v[68:69], v[52:53], v[58:59]
	v_add_f64_e32 v[60:61], v[50:51], v[60:61]
	;; [unrolled: 1-line block ×5, first 2 shown]
	v_add_f64_e64 v[132:133], v[54:55], -v[62:63]
	v_add_f64_e64 v[134:135], v[52:53], -v[58:59]
	v_fma_f64 v[64:65], v[64:65], -0.5, v[48:49]
	v_fma_f64 v[66:67], v[66:67], -0.5, v[50:51]
	;; [unrolled: 1-line block ×3, first 2 shown]
	v_add_f64_e32 v[36:37], v[120:121], v[128:129]
	v_fma_f64 v[70:71], v[70:71], -0.5, v[38:39]
	v_add_f64_e32 v[38:39], v[60:61], v[56:57]
	v_add_f64_e32 v[48:49], v[126:127], v[58:59]
	;; [unrolled: 1-line block ×3, first 2 shown]
	v_fma_f64 v[52:53], v[122:123], s[0:1], v[64:65]
	s_wait_alu 0xfffe
	v_fma_f64 v[56:57], v[122:123], s[2:3], v[64:65]
	v_fma_f64 v[54:55], v[124:125], s[2:3], v[66:67]
	;; [unrolled: 1-line block ×7, first 2 shown]
	ds_store_b128 v169, v[36:39]
	ds_store_b128 v169, v[52:55] offset:144
	ds_store_b128 v169, v[56:59] offset:288
	ds_store_b128 v168, v[48:51]
	ds_store_b128 v168, v[60:63] offset:144
	ds_store_b128 v168, v[64:67] offset:288
	s_and_saveexec_b32 s10, vcc_lo
	s_cbranch_execz .LBB0_29
; %bb.28:
	v_mul_f64_e32 v[36:37], v[46:47], v[28:29]
	v_mul_f64_e32 v[38:39], v[42:43], v[32:33]
	;; [unrolled: 1-line block ×4, first 2 shown]
	s_delay_alu instid0(VALU_DEP_4) | instskip(NEXT) | instid1(VALU_DEP_4)
	v_fma_f64 v[30:31], v[44:45], v[30:31], -v[36:37]
	v_fma_f64 v[34:35], v[40:41], v[34:35], -v[38:39]
	s_delay_alu instid0(VALU_DEP_4) | instskip(NEXT) | instid1(VALU_DEP_4)
	v_fma_f64 v[28:29], v[44:45], v[28:29], v[46:47]
	v_fma_f64 v[32:33], v[40:41], v[32:33], v[42:43]
	s_delay_alu instid0(VALU_DEP_4) | instskip(NEXT) | instid1(VALU_DEP_4)
	v_add_f64_e32 v[42:43], v[26:27], v[30:31]
	v_add_f64_e32 v[36:37], v[30:31], v[34:35]
	v_add_f64_e64 v[44:45], v[30:31], -v[34:35]
	s_delay_alu instid0(VALU_DEP_4)
	v_add_f64_e32 v[38:39], v[28:29], v[32:33]
	v_add_f64_e64 v[40:41], v[28:29], -v[32:33]
	v_add_f64_e32 v[28:29], v[24:25], v[28:29]
	v_fma_f64 v[36:37], v[36:37], -0.5, v[26:27]
	v_add_f64_e32 v[26:27], v[42:43], v[34:35]
	v_fma_f64 v[38:39], v[38:39], -0.5, v[24:25]
	s_delay_alu instid0(VALU_DEP_4) | instskip(NEXT) | instid1(VALU_DEP_4)
	v_add_f64_e32 v[24:25], v[28:29], v[32:33]
	v_fma_f64 v[34:35], v[40:41], s[2:3], v[36:37]
	v_fma_f64 v[30:31], v[40:41], s[0:1], v[36:37]
	s_delay_alu instid0(VALU_DEP_4) | instskip(SKIP_2) | instid1(VALU_DEP_1)
	v_fma_f64 v[32:33], v[44:45], s[0:1], v[38:39]
	v_fma_f64 v[28:29], v[44:45], s[2:3], v[38:39]
	v_and_b32_e32 v36, 0xffff, v167
	v_lshlrev_b32_e32 v36, 4, v36
	ds_store_b128 v36, v[24:27]
	ds_store_b128 v36, v[32:35] offset:144
	ds_store_b128 v36, v[28:31] offset:288
.LBB0_29:
	s_wait_alu 0xfffe
	s_or_b32 exec_lo, exec_lo, s10
	global_wb scope:SCOPE_SE
	s_wait_dscnt 0x0
	s_barrier_signal -1
	s_barrier_wait -1
	global_inv scope:SCOPE_SE
	ds_load_b128 v[24:27], v159 offset:3024
	ds_load_b128 v[28:31], v159 offset:6048
	;; [unrolled: 1-line block ×6, first 2 shown]
	s_mov_b32 s2, 0x37e14327
	s_mov_b32 s10, 0xe976ee23
	;; [unrolled: 1-line block ×14, first 2 shown]
	s_wait_dscnt 0x5
	v_mul_f64_e32 v[48:49], v[78:79], v[26:27]
	v_mul_f64_e32 v[50:51], v[78:79], v[24:25]
	s_wait_dscnt 0x4
	v_mul_f64_e32 v[52:53], v[74:75], v[30:31]
	v_mul_f64_e32 v[54:55], v[74:75], v[28:29]
	;; [unrolled: 3-line block ×6, first 2 shown]
	s_mov_b32 s19, 0xbfe77f67
	s_mov_b32 s23, 0x3fd5d0dc
	s_wait_alu 0xfffe
	s_mov_b32 s18, s16
	s_mov_b32 s22, s20
	;; [unrolled: 1-line block ×4, first 2 shown]
	v_fma_f64 v[24:25], v[76:77], v[24:25], v[48:49]
	v_fma_f64 v[26:27], v[76:77], v[26:27], -v[50:51]
	v_fma_f64 v[28:29], v[72:73], v[28:29], v[52:53]
	v_fma_f64 v[30:31], v[72:73], v[30:31], -v[54:55]
	;; [unrolled: 2-line block ×6, first 2 shown]
	v_add_f64_e32 v[48:49], v[24:25], v[32:33]
	v_add_f64_e32 v[50:51], v[26:27], v[34:35]
	;; [unrolled: 1-line block ×4, first 2 shown]
	v_add_f64_e64 v[28:29], v[28:29], -v[36:37]
	v_add_f64_e64 v[30:31], v[30:31], -v[38:39]
	v_add_f64_e32 v[36:37], v[40:41], v[44:45]
	v_add_f64_e32 v[38:39], v[42:43], v[46:47]
	v_add_f64_e64 v[40:41], v[44:45], -v[40:41]
	v_add_f64_e64 v[42:43], v[46:47], -v[42:43]
	;; [unrolled: 1-line block ×4, first 2 shown]
	v_add_f64_e32 v[24:25], v[52:53], v[48:49]
	v_add_f64_e32 v[26:27], v[54:55], v[50:51]
	v_add_f64_e64 v[44:45], v[48:49], -v[36:37]
	v_add_f64_e64 v[46:47], v[50:51], -v[38:39]
	v_add_f64_e64 v[56:57], v[40:41], -v[28:29]
	v_add_f64_e64 v[58:59], v[42:43], -v[30:31]
	v_add_f64_e64 v[60:61], v[28:29], -v[32:33]
	v_add_f64_e64 v[62:63], v[30:31], -v[34:35]
	v_add_f64_e32 v[28:29], v[40:41], v[28:29]
	v_add_f64_e32 v[30:31], v[42:43], v[30:31]
	v_add_f64_e64 v[40:41], v[32:33], -v[40:41]
	v_add_f64_e64 v[42:43], v[34:35], -v[42:43]
	;; [unrolled: 1-line block ×4, first 2 shown]
	v_add_f64_e32 v[64:65], v[36:37], v[24:25]
	v_add_f64_e32 v[66:67], v[38:39], v[26:27]
	v_add_f64_e64 v[36:37], v[36:37], -v[52:53]
	v_add_f64_e64 v[38:39], v[38:39], -v[54:55]
	ds_load_b128 v[24:27], v159
	v_mul_f64_e32 v[44:45], s[2:3], v[44:45]
	v_mul_f64_e32 v[46:47], s[2:3], v[46:47]
	;; [unrolled: 1-line block ×6, first 2 shown]
	v_add_f64_e32 v[28:29], v[28:29], v[32:33]
	v_add_f64_e32 v[30:31], v[30:31], v[34:35]
	global_wb scope:SCOPE_SE
	s_wait_dscnt 0x0
	s_barrier_signal -1
	s_barrier_wait -1
	global_inv scope:SCOPE_SE
	v_add_f64_e32 v[24:25], v[24:25], v[64:65]
	v_add_f64_e32 v[26:27], v[26:27], v[66:67]
	v_mul_f64_e32 v[52:53], s[12:13], v[36:37]
	v_mul_f64_e32 v[54:55], s[12:13], v[38:39]
	v_fma_f64 v[32:33], v[36:37], s[12:13], v[44:45]
	v_fma_f64 v[34:35], v[38:39], s[12:13], v[46:47]
	;; [unrolled: 1-line block ×4, first 2 shown]
	v_fma_f64 v[56:57], v[60:61], s[0:1], -v[56:57]
	v_fma_f64 v[58:59], v[62:63], s[0:1], -v[58:59]
	s_wait_alu 0xfffe
	v_fma_f64 v[40:41], v[40:41], s[22:23], -v[68:69]
	v_fma_f64 v[42:43], v[42:43], s[22:23], -v[70:71]
	;; [unrolled: 1-line block ×4, first 2 shown]
	v_fma_f64 v[60:61], v[64:65], s[14:15], v[24:25]
	v_fma_f64 v[62:63], v[66:67], s[14:15], v[26:27]
	v_fma_f64 v[48:49], v[48:49], s[16:17], -v[52:53]
	v_fma_f64 v[50:51], v[50:51], s[16:17], -v[54:55]
	v_fma_f64 v[52:53], v[28:29], s[24:25], v[36:37]
	v_fma_f64 v[54:55], v[30:31], s[24:25], v[38:39]
	;; [unrolled: 1-line block ×6, first 2 shown]
	v_add_f64_e32 v[68:69], v[32:33], v[60:61]
	v_add_f64_e32 v[70:71], v[34:35], v[62:63]
	;; [unrolled: 1-line block ×7, first 2 shown]
	v_add_f64_e64 v[30:31], v[70:71], -v[52:53]
	v_add_f64_e32 v[32:33], v[66:67], v[44:45]
	v_add_f64_e64 v[34:35], v[46:47], -v[64:65]
	v_add_f64_e64 v[36:37], v[40:41], -v[58:59]
	v_add_f64_e32 v[38:39], v[56:57], v[42:43]
	v_add_f64_e32 v[40:41], v[58:59], v[40:41]
	v_add_f64_e64 v[42:43], v[42:43], -v[56:57]
	v_add_f64_e64 v[44:45], v[44:45], -v[66:67]
	v_add_f64_e32 v[46:47], v[64:65], v[46:47]
	v_add_f64_e64 v[48:49], v[68:69], -v[54:55]
	v_add_f64_e32 v[50:51], v[52:53], v[70:71]
	ds_store_b128 v170, v[24:27]
	ds_store_b128 v170, v[28:31] offset:432
	ds_store_b128 v170, v[32:35] offset:864
	;; [unrolled: 1-line block ×6, first 2 shown]
	global_wb scope:SCOPE_SE
	s_wait_dscnt 0x0
	s_barrier_signal -1
	s_barrier_wait -1
	global_inv scope:SCOPE_SE
	ds_load_b128 v[24:27], v159 offset:3024
	ds_load_b128 v[28:31], v159 offset:6048
	;; [unrolled: 1-line block ×6, first 2 shown]
	s_wait_dscnt 0x5
	v_mul_f64_e32 v[48:49], v[102:103], v[26:27]
	v_mul_f64_e32 v[50:51], v[102:103], v[24:25]
	s_wait_dscnt 0x4
	v_mul_f64_e32 v[52:53], v[98:99], v[30:31]
	v_mul_f64_e32 v[54:55], v[98:99], v[28:29]
	;; [unrolled: 3-line block ×6, first 2 shown]
	v_fma_f64 v[24:25], v[100:101], v[24:25], v[48:49]
	v_fma_f64 v[26:27], v[100:101], v[26:27], -v[50:51]
	v_fma_f64 v[28:29], v[96:97], v[28:29], v[52:53]
	v_fma_f64 v[30:31], v[96:97], v[30:31], -v[54:55]
	;; [unrolled: 2-line block ×6, first 2 shown]
	v_add_f64_e32 v[48:49], v[24:25], v[32:33]
	v_add_f64_e32 v[50:51], v[26:27], v[34:35]
	;; [unrolled: 1-line block ×4, first 2 shown]
	v_add_f64_e64 v[28:29], v[28:29], -v[36:37]
	v_add_f64_e64 v[30:31], v[30:31], -v[38:39]
	v_add_f64_e32 v[36:37], v[40:41], v[44:45]
	v_add_f64_e32 v[38:39], v[42:43], v[46:47]
	v_add_f64_e64 v[40:41], v[44:45], -v[40:41]
	v_add_f64_e64 v[42:43], v[46:47], -v[42:43]
	;; [unrolled: 1-line block ×4, first 2 shown]
	v_add_f64_e32 v[24:25], v[52:53], v[48:49]
	v_add_f64_e32 v[26:27], v[54:55], v[50:51]
	v_add_f64_e64 v[44:45], v[48:49], -v[36:37]
	v_add_f64_e64 v[46:47], v[50:51], -v[38:39]
	;; [unrolled: 1-line block ×6, first 2 shown]
	v_add_f64_e32 v[28:29], v[40:41], v[28:29]
	v_add_f64_e32 v[30:31], v[42:43], v[30:31]
	v_add_f64_e64 v[40:41], v[32:33], -v[40:41]
	v_add_f64_e64 v[42:43], v[34:35], -v[42:43]
	;; [unrolled: 1-line block ×4, first 2 shown]
	v_add_f64_e32 v[64:65], v[36:37], v[24:25]
	v_add_f64_e32 v[66:67], v[38:39], v[26:27]
	v_add_f64_e64 v[36:37], v[36:37], -v[52:53]
	v_add_f64_e64 v[38:39], v[38:39], -v[54:55]
	ds_load_b128 v[24:27], v159
	v_mul_f64_e32 v[44:45], s[2:3], v[44:45]
	v_mul_f64_e32 v[46:47], s[2:3], v[46:47]
	;; [unrolled: 1-line block ×6, first 2 shown]
	v_add_f64_e32 v[28:29], v[28:29], v[32:33]
	v_add_f64_e32 v[30:31], v[30:31], v[34:35]
	s_mov_b32 s2, 0x7a4ab0dc
	s_mov_b32 s3, 0x3f48c498
	s_wait_dscnt 0x0
	v_add_f64_e32 v[24:25], v[24:25], v[64:65]
	v_add_f64_e32 v[26:27], v[26:27], v[66:67]
	v_mul_f64_e32 v[52:53], s[12:13], v[36:37]
	v_mul_f64_e32 v[54:55], s[12:13], v[38:39]
	v_fma_f64 v[32:33], v[36:37], s[12:13], v[44:45]
	v_fma_f64 v[34:35], v[38:39], s[12:13], v[46:47]
	;; [unrolled: 1-line block ×4, first 2 shown]
	v_fma_f64 v[56:57], v[60:61], s[0:1], -v[56:57]
	v_fma_f64 v[58:59], v[62:63], s[0:1], -v[58:59]
	;; [unrolled: 1-line block ×6, first 2 shown]
	v_fma_f64 v[60:61], v[64:65], s[14:15], v[24:25]
	v_fma_f64 v[62:63], v[66:67], s[14:15], v[26:27]
	v_fma_f64 v[48:49], v[48:49], s[16:17], -v[52:53]
	v_fma_f64 v[50:51], v[50:51], s[16:17], -v[54:55]
	v_fma_f64 v[52:53], v[28:29], s[24:25], v[36:37]
	v_fma_f64 v[54:55], v[30:31], s[24:25], v[38:39]
	;; [unrolled: 1-line block ×6, first 2 shown]
	v_add_f64_e32 v[68:69], v[32:33], v[60:61]
	v_add_f64_e32 v[70:71], v[34:35], v[62:63]
	v_add_f64_e32 v[44:45], v[44:45], v[60:61]
	v_add_f64_e32 v[46:47], v[46:47], v[62:63]
	v_add_f64_e32 v[40:41], v[48:49], v[60:61]
	v_add_f64_e32 v[42:43], v[50:51], v[62:63]
	v_mad_co_u64_u32 v[60:61], null, s6, v156, 0
	v_add_f64_e32 v[28:29], v[54:55], v[68:69]
	v_add_f64_e64 v[30:31], v[70:71], -v[52:53]
	v_add_f64_e32 v[32:33], v[66:67], v[44:45]
	v_add_f64_e64 v[34:35], v[46:47], -v[64:65]
	v_add_f64_e64 v[36:37], v[40:41], -v[58:59]
	v_add_f64_e32 v[38:39], v[56:57], v[42:43]
	v_add_f64_e32 v[40:41], v[58:59], v[40:41]
	v_add_f64_e64 v[42:43], v[42:43], -v[56:57]
	v_add_f64_e64 v[44:45], v[44:45], -v[66:67]
	v_add_f64_e32 v[46:47], v[64:65], v[46:47]
	v_add_f64_e64 v[48:49], v[68:69], -v[54:55]
	v_add_f64_e32 v[50:51], v[52:53], v[70:71]
	ds_store_b128 v159, v[24:27]
	ds_store_b128 v159, v[28:31] offset:3024
	ds_store_b128 v159, v[32:35] offset:6048
	;; [unrolled: 1-line block ×6, first 2 shown]
	global_wb scope:SCOPE_SE
	s_wait_dscnt 0x0
	s_barrier_signal -1
	s_barrier_wait -1
	global_inv scope:SCOPE_SE
	ds_load_b128 v[24:27], v159
	ds_load_b128 v[28:31], v159 offset:7056
	ds_load_b128 v[32:35], v159 offset:14112
	;; [unrolled: 1-line block ×5, first 2 shown]
	s_wait_dscnt 0x5
	v_mul_f64_e32 v[48:49], v[10:11], v[26:27]
	v_mul_f64_e32 v[10:11], v[10:11], v[24:25]
	s_wait_dscnt 0x4
	v_mul_f64_e32 v[50:51], v[2:3], v[30:31]
	v_mul_f64_e32 v[2:3], v[2:3], v[28:29]
	;; [unrolled: 3-line block ×6, first 2 shown]
	v_fma_f64 v[24:25], v[8:9], v[24:25], v[48:49]
	v_fma_f64 v[8:9], v[8:9], v[26:27], -v[10:11]
	v_fma_f64 v[10:11], v[0:1], v[28:29], v[50:51]
	v_fma_f64 v[0:1], v[0:1], v[30:31], -v[2:3]
	;; [unrolled: 2-line block ×6, first 2 shown]
	v_mov_b32_e32 v4, v61
	v_mad_co_u64_u32 v[2:3], null, s4, v160, 0
	s_delay_alu instid0(VALU_DEP_2) | instskip(SKIP_3) | instid1(VALU_DEP_1)
	v_mad_co_u64_u32 v[4:5], null, s7, v156, v[4:5]
	s_mul_u64 s[6:7], s[4:5], 0x1b9
	s_wait_alu 0xfffe
	s_lshl_b64 s[6:7], s[6:7], 4
	v_mad_co_u64_u32 v[5:6], null, s5, v160, v[3:4]
	v_mov_b32_e32 v61, v4
	s_delay_alu instid0(VALU_DEP_1) | instskip(NEXT) | instid1(VALU_DEP_3)
	v_lshlrev_b64_e32 v[42:43], 4, v[60:61]
	v_mov_b32_e32 v3, v5
	s_delay_alu instid0(VALU_DEP_1)
	v_lshlrev_b64_e32 v[44:45], 4, v[2:3]
	v_mul_f64_e32 v[2:3], s[2:3], v[24:25]
	v_mul_f64_e32 v[4:5], s[2:3], v[8:9]
	;; [unrolled: 1-line block ×4, first 2 shown]
	v_add_co_u32 v0, s0, s8, v42
	v_mul_f64_e32 v[10:11], s[2:3], v[26:27]
	v_mul_f64_e32 v[12:13], s[2:3], v[28:29]
	;; [unrolled: 1-line block ×4, first 2 shown]
	s_wait_alu 0xf1ff
	v_add_co_ci_u32_e64 v1, s0, s9, v43, s0
	v_mul_f64_e32 v[18:19], s[2:3], v[34:35]
	v_mul_f64_e32 v[20:21], s[2:3], v[36:37]
	;; [unrolled: 1-line block ×4, first 2 shown]
	v_add_co_u32 v26, s0, v0, v44
	s_wait_alu 0xf1ff
	v_add_co_ci_u32_e64 v27, s0, v1, v45, s0
	s_movk_i32 s8, 0xfd4b
	s_wait_alu 0xfffe
	v_add_co_u32 v28, s0, v26, s6
	s_wait_alu 0xf1ff
	v_add_co_ci_u32_e64 v29, s0, s7, v27, s0
	s_mov_b32 s9, -1
	s_delay_alu instid0(VALU_DEP_2)
	v_add_co_u32 v30, s0, v28, s6
	s_wait_alu 0xfffe
	s_mul_u64 s[4:5], s[4:5], s[8:9]
	v_add_co_ci_u32_e64 v31, s0, s7, v29, s0
	s_wait_alu 0xfffe
	s_lshl_b64 s[4:5], s[4:5], 4
	s_wait_alu 0xfffe
	v_add_co_u32 v32, s0, v30, s4
	s_wait_alu 0xf1ff
	v_add_co_ci_u32_e64 v33, s0, s5, v31, s0
	s_delay_alu instid0(VALU_DEP_2) | instskip(SKIP_1) | instid1(VALU_DEP_2)
	v_add_co_u32 v34, s0, v32, s6
	s_wait_alu 0xf1ff
	v_add_co_ci_u32_e64 v35, s0, s7, v33, s0
	s_delay_alu instid0(VALU_DEP_2) | instskip(SKIP_1) | instid1(VALU_DEP_2)
	v_add_co_u32 v0, s0, v34, s6
	s_wait_alu 0xf1ff
	v_add_co_ci_u32_e64 v1, s0, s7, v35, s0
	s_clause 0x4
	global_store_b128 v[26:27], v[2:5], off
	global_store_b128 v[28:29], v[6:9], off
	;; [unrolled: 1-line block ×6, first 2 shown]
	s_and_b32 exec_lo, exec_lo, vcc_lo
	s_cbranch_execz .LBB0_31
; %bb.30:
	s_clause 0x2
	global_load_b128 v[2:5], v[157:158], off offset:6048
	global_load_b128 v[6:9], v[157:158], off offset:13104
	;; [unrolled: 1-line block ×3, first 2 shown]
	ds_load_b128 v[14:17], v159 offset:6048
	ds_load_b128 v[18:21], v159 offset:13104
	ds_load_b128 v[22:25], v159 offset:20160
	v_add_co_u32 v0, vcc_lo, v0, s4
	s_wait_alu 0xfffd
	v_add_co_ci_u32_e32 v1, vcc_lo, s5, v1, vcc_lo
	s_wait_loadcnt_dscnt 0x202
	v_mul_f64_e32 v[26:27], v[16:17], v[4:5]
	v_mul_f64_e32 v[4:5], v[14:15], v[4:5]
	s_wait_loadcnt_dscnt 0x101
	v_mul_f64_e32 v[28:29], v[20:21], v[8:9]
	v_mul_f64_e32 v[8:9], v[18:19], v[8:9]
	s_wait_loadcnt_dscnt 0x0
	v_mul_f64_e32 v[30:31], v[24:25], v[12:13]
	v_mul_f64_e32 v[12:13], v[22:23], v[12:13]
	v_fma_f64 v[14:15], v[14:15], v[2:3], v[26:27]
	v_fma_f64 v[4:5], v[2:3], v[16:17], -v[4:5]
	v_fma_f64 v[16:17], v[18:19], v[6:7], v[28:29]
	v_fma_f64 v[8:9], v[6:7], v[20:21], -v[8:9]
	;; [unrolled: 2-line block ×3, first 2 shown]
	v_mul_f64_e32 v[2:3], s[2:3], v[14:15]
	v_mul_f64_e32 v[4:5], s[2:3], v[4:5]
	;; [unrolled: 1-line block ×6, first 2 shown]
	v_add_co_u32 v14, vcc_lo, v0, s6
	s_wait_alu 0xfffd
	v_add_co_ci_u32_e32 v15, vcc_lo, s7, v1, vcc_lo
	s_delay_alu instid0(VALU_DEP_2) | instskip(SKIP_1) | instid1(VALU_DEP_2)
	v_add_co_u32 v16, vcc_lo, v14, s6
	s_wait_alu 0xfffd
	v_add_co_ci_u32_e32 v17, vcc_lo, s7, v15, vcc_lo
	global_store_b128 v[0:1], v[2:5], off
	global_store_b128 v[14:15], v[6:9], off
	;; [unrolled: 1-line block ×3, first 2 shown]
.LBB0_31:
	s_nop 0
	s_sendmsg sendmsg(MSG_DEALLOC_VGPRS)
	s_endpgm
	.section	.rodata,"a",@progbits
	.p2align	6, 0x0
	.amdhsa_kernel bluestein_single_back_len1323_dim1_dp_op_CI_CI
		.amdhsa_group_segment_fixed_size 21168
		.amdhsa_private_segment_fixed_size 0
		.amdhsa_kernarg_size 104
		.amdhsa_user_sgpr_count 2
		.amdhsa_user_sgpr_dispatch_ptr 0
		.amdhsa_user_sgpr_queue_ptr 0
		.amdhsa_user_sgpr_kernarg_segment_ptr 1
		.amdhsa_user_sgpr_dispatch_id 0
		.amdhsa_user_sgpr_private_segment_size 0
		.amdhsa_wavefront_size32 1
		.amdhsa_uses_dynamic_stack 0
		.amdhsa_enable_private_segment 0
		.amdhsa_system_sgpr_workgroup_id_x 1
		.amdhsa_system_sgpr_workgroup_id_y 0
		.amdhsa_system_sgpr_workgroup_id_z 0
		.amdhsa_system_sgpr_workgroup_info 0
		.amdhsa_system_vgpr_workitem_id 0
		.amdhsa_next_free_vgpr 207
		.amdhsa_next_free_sgpr 30
		.amdhsa_reserve_vcc 1
		.amdhsa_float_round_mode_32 0
		.amdhsa_float_round_mode_16_64 0
		.amdhsa_float_denorm_mode_32 3
		.amdhsa_float_denorm_mode_16_64 3
		.amdhsa_fp16_overflow 0
		.amdhsa_workgroup_processor_mode 1
		.amdhsa_memory_ordered 1
		.amdhsa_forward_progress 0
		.amdhsa_round_robin_scheduling 0
		.amdhsa_exception_fp_ieee_invalid_op 0
		.amdhsa_exception_fp_denorm_src 0
		.amdhsa_exception_fp_ieee_div_zero 0
		.amdhsa_exception_fp_ieee_overflow 0
		.amdhsa_exception_fp_ieee_underflow 0
		.amdhsa_exception_fp_ieee_inexact 0
		.amdhsa_exception_int_div_zero 0
	.end_amdhsa_kernel
	.text
.Lfunc_end0:
	.size	bluestein_single_back_len1323_dim1_dp_op_CI_CI, .Lfunc_end0-bluestein_single_back_len1323_dim1_dp_op_CI_CI
                                        ; -- End function
	.section	.AMDGPU.csdata,"",@progbits
; Kernel info:
; codeLenInByte = 11148
; NumSgprs: 32
; NumVgprs: 207
; ScratchSize: 0
; MemoryBound: 0
; FloatMode: 240
; IeeeMode: 1
; LDSByteSize: 21168 bytes/workgroup (compile time only)
; SGPRBlocks: 3
; VGPRBlocks: 25
; NumSGPRsForWavesPerEU: 32
; NumVGPRsForWavesPerEU: 207
; Occupancy: 7
; WaveLimiterHint : 1
; COMPUTE_PGM_RSRC2:SCRATCH_EN: 0
; COMPUTE_PGM_RSRC2:USER_SGPR: 2
; COMPUTE_PGM_RSRC2:TRAP_HANDLER: 0
; COMPUTE_PGM_RSRC2:TGID_X_EN: 1
; COMPUTE_PGM_RSRC2:TGID_Y_EN: 0
; COMPUTE_PGM_RSRC2:TGID_Z_EN: 0
; COMPUTE_PGM_RSRC2:TIDIG_COMP_CNT: 0
	.text
	.p2alignl 7, 3214868480
	.fill 96, 4, 3214868480
	.type	__hip_cuid_2daeceb54a7d5c26,@object ; @__hip_cuid_2daeceb54a7d5c26
	.section	.bss,"aw",@nobits
	.globl	__hip_cuid_2daeceb54a7d5c26
__hip_cuid_2daeceb54a7d5c26:
	.byte	0                               ; 0x0
	.size	__hip_cuid_2daeceb54a7d5c26, 1

	.ident	"AMD clang version 19.0.0git (https://github.com/RadeonOpenCompute/llvm-project roc-6.4.0 25133 c7fe45cf4b819c5991fe208aaa96edf142730f1d)"
	.section	".note.GNU-stack","",@progbits
	.addrsig
	.addrsig_sym __hip_cuid_2daeceb54a7d5c26
	.amdgpu_metadata
---
amdhsa.kernels:
  - .args:
      - .actual_access:  read_only
        .address_space:  global
        .offset:         0
        .size:           8
        .value_kind:     global_buffer
      - .actual_access:  read_only
        .address_space:  global
        .offset:         8
        .size:           8
        .value_kind:     global_buffer
      - .actual_access:  read_only
        .address_space:  global
        .offset:         16
        .size:           8
        .value_kind:     global_buffer
      - .actual_access:  read_only
        .address_space:  global
        .offset:         24
        .size:           8
        .value_kind:     global_buffer
      - .actual_access:  read_only
        .address_space:  global
        .offset:         32
        .size:           8
        .value_kind:     global_buffer
      - .offset:         40
        .size:           8
        .value_kind:     by_value
      - .address_space:  global
        .offset:         48
        .size:           8
        .value_kind:     global_buffer
      - .address_space:  global
        .offset:         56
        .size:           8
        .value_kind:     global_buffer
      - .address_space:  global
        .offset:         64
        .size:           8
        .value_kind:     global_buffer
      - .address_space:  global
        .offset:         72
        .size:           8
        .value_kind:     global_buffer
      - .offset:         80
        .size:           4
        .value_kind:     by_value
      - .address_space:  global
        .offset:         88
        .size:           8
        .value_kind:     global_buffer
      - .address_space:  global
        .offset:         96
        .size:           8
        .value_kind:     global_buffer
    .group_segment_fixed_size: 21168
    .kernarg_segment_align: 8
    .kernarg_segment_size: 104
    .language:       OpenCL C
    .language_version:
      - 2
      - 0
    .max_flat_workgroup_size: 189
    .name:           bluestein_single_back_len1323_dim1_dp_op_CI_CI
    .private_segment_fixed_size: 0
    .sgpr_count:     32
    .sgpr_spill_count: 0
    .symbol:         bluestein_single_back_len1323_dim1_dp_op_CI_CI.kd
    .uniform_work_group_size: 1
    .uses_dynamic_stack: false
    .vgpr_count:     207
    .vgpr_spill_count: 0
    .wavefront_size: 32
    .workgroup_processor_mode: 1
amdhsa.target:   amdgcn-amd-amdhsa--gfx1201
amdhsa.version:
  - 1
  - 2
...

	.end_amdgpu_metadata
